;; amdgpu-corpus repo=ROCm/rocFFT kind=compiled arch=gfx906 opt=O3
	.text
	.amdgcn_target "amdgcn-amd-amdhsa--gfx906"
	.amdhsa_code_object_version 6
	.protected	fft_rtc_fwd_len336_factors_8_7_6_wgs_112_tpt_56_halfLds_dp_ip_CI_unitstride_sbrr_dirReg ; -- Begin function fft_rtc_fwd_len336_factors_8_7_6_wgs_112_tpt_56_halfLds_dp_ip_CI_unitstride_sbrr_dirReg
	.globl	fft_rtc_fwd_len336_factors_8_7_6_wgs_112_tpt_56_halfLds_dp_ip_CI_unitstride_sbrr_dirReg
	.p2align	8
	.type	fft_rtc_fwd_len336_factors_8_7_6_wgs_112_tpt_56_halfLds_dp_ip_CI_unitstride_sbrr_dirReg,@function
fft_rtc_fwd_len336_factors_8_7_6_wgs_112_tpt_56_halfLds_dp_ip_CI_unitstride_sbrr_dirReg: ; @fft_rtc_fwd_len336_factors_8_7_6_wgs_112_tpt_56_halfLds_dp_ip_CI_unitstride_sbrr_dirReg
; %bb.0:
	s_load_dwordx2 s[12:13], s[4:5], 0x50
	s_load_dwordx4 s[8:11], s[4:5], 0x0
	s_load_dwordx2 s[2:3], s[4:5], 0x18
	v_mul_u32_u24_e32 v1, 0x493, v0
	v_lshrrev_b32_e32 v44, 16, v1
	v_mov_b32_e32 v3, 0
	s_waitcnt lgkmcnt(0)
	v_cmp_lt_u64_e64 s[0:1], s[10:11], 2
	v_mov_b32_e32 v1, 0
	v_lshl_add_u32 v5, s6, 1, v44
	v_mov_b32_e32 v6, v3
	s_and_b64 vcc, exec, s[0:1]
	v_mov_b32_e32 v2, 0
	s_cbranch_vccnz .LBB0_8
; %bb.1:
	s_load_dwordx2 s[0:1], s[4:5], 0x10
	s_add_u32 s6, s2, 8
	s_addc_u32 s7, s3, 0
	v_mov_b32_e32 v1, 0
	v_mov_b32_e32 v2, 0
	s_waitcnt lgkmcnt(0)
	s_add_u32 s14, s0, 8
	s_addc_u32 s15, s1, 0
	s_mov_b64 s[16:17], 1
.LBB0_2:                                ; =>This Inner Loop Header: Depth=1
	s_load_dwordx2 s[18:19], s[14:15], 0x0
                                        ; implicit-def: $vgpr7_vgpr8
	s_waitcnt lgkmcnt(0)
	v_or_b32_e32 v4, s19, v6
	v_cmp_ne_u64_e32 vcc, 0, v[3:4]
	s_and_saveexec_b64 s[0:1], vcc
	s_xor_b64 s[20:21], exec, s[0:1]
	s_cbranch_execz .LBB0_4
; %bb.3:                                ;   in Loop: Header=BB0_2 Depth=1
	v_cvt_f32_u32_e32 v4, s18
	v_cvt_f32_u32_e32 v7, s19
	s_sub_u32 s0, 0, s18
	s_subb_u32 s1, 0, s19
	v_mac_f32_e32 v4, 0x4f800000, v7
	v_rcp_f32_e32 v4, v4
	v_mul_f32_e32 v4, 0x5f7ffffc, v4
	v_mul_f32_e32 v7, 0x2f800000, v4
	v_trunc_f32_e32 v7, v7
	v_mac_f32_e32 v4, 0xcf800000, v7
	v_cvt_u32_f32_e32 v7, v7
	v_cvt_u32_f32_e32 v4, v4
	v_mul_lo_u32 v8, s0, v7
	v_mul_hi_u32 v9, s0, v4
	v_mul_lo_u32 v11, s1, v4
	v_mul_lo_u32 v10, s0, v4
	v_add_u32_e32 v8, v9, v8
	v_add_u32_e32 v8, v8, v11
	v_mul_hi_u32 v9, v4, v10
	v_mul_lo_u32 v11, v4, v8
	v_mul_hi_u32 v13, v4, v8
	v_mul_hi_u32 v12, v7, v10
	v_mul_lo_u32 v10, v7, v10
	v_mul_hi_u32 v14, v7, v8
	v_add_co_u32_e32 v9, vcc, v9, v11
	v_addc_co_u32_e32 v11, vcc, 0, v13, vcc
	v_mul_lo_u32 v8, v7, v8
	v_add_co_u32_e32 v9, vcc, v9, v10
	v_addc_co_u32_e32 v9, vcc, v11, v12, vcc
	v_addc_co_u32_e32 v10, vcc, 0, v14, vcc
	v_add_co_u32_e32 v8, vcc, v9, v8
	v_addc_co_u32_e32 v9, vcc, 0, v10, vcc
	v_add_co_u32_e32 v4, vcc, v4, v8
	v_addc_co_u32_e32 v7, vcc, v7, v9, vcc
	v_mul_lo_u32 v8, s0, v7
	v_mul_hi_u32 v9, s0, v4
	v_mul_lo_u32 v10, s1, v4
	v_mul_lo_u32 v11, s0, v4
	v_add_u32_e32 v8, v9, v8
	v_add_u32_e32 v8, v8, v10
	v_mul_lo_u32 v12, v4, v8
	v_mul_hi_u32 v13, v4, v11
	v_mul_hi_u32 v14, v4, v8
	;; [unrolled: 1-line block ×3, first 2 shown]
	v_mul_lo_u32 v11, v7, v11
	v_mul_hi_u32 v9, v7, v8
	v_add_co_u32_e32 v12, vcc, v13, v12
	v_addc_co_u32_e32 v13, vcc, 0, v14, vcc
	v_mul_lo_u32 v8, v7, v8
	v_add_co_u32_e32 v11, vcc, v12, v11
	v_addc_co_u32_e32 v10, vcc, v13, v10, vcc
	v_addc_co_u32_e32 v9, vcc, 0, v9, vcc
	v_add_co_u32_e32 v8, vcc, v10, v8
	v_addc_co_u32_e32 v9, vcc, 0, v9, vcc
	v_add_co_u32_e32 v4, vcc, v4, v8
	v_addc_co_u32_e32 v9, vcc, v7, v9, vcc
	v_mad_u64_u32 v[7:8], s[0:1], v5, v9, 0
	v_mul_hi_u32 v10, v5, v4
	v_add_co_u32_e32 v11, vcc, v10, v7
	v_addc_co_u32_e32 v12, vcc, 0, v8, vcc
	v_mad_u64_u32 v[7:8], s[0:1], v6, v4, 0
	v_mad_u64_u32 v[9:10], s[0:1], v6, v9, 0
	v_add_co_u32_e32 v4, vcc, v11, v7
	v_addc_co_u32_e32 v4, vcc, v12, v8, vcc
	v_addc_co_u32_e32 v7, vcc, 0, v10, vcc
	v_add_co_u32_e32 v4, vcc, v4, v9
	v_addc_co_u32_e32 v9, vcc, 0, v7, vcc
	v_mul_lo_u32 v10, s19, v4
	v_mul_lo_u32 v11, s18, v9
	v_mad_u64_u32 v[7:8], s[0:1], s18, v4, 0
	v_add3_u32 v8, v8, v11, v10
	v_sub_u32_e32 v10, v6, v8
	v_mov_b32_e32 v11, s19
	v_sub_co_u32_e32 v7, vcc, v5, v7
	v_subb_co_u32_e64 v10, s[0:1], v10, v11, vcc
	v_subrev_co_u32_e64 v11, s[0:1], s18, v7
	v_subbrev_co_u32_e64 v10, s[0:1], 0, v10, s[0:1]
	v_cmp_le_u32_e64 s[0:1], s19, v10
	v_cndmask_b32_e64 v12, 0, -1, s[0:1]
	v_cmp_le_u32_e64 s[0:1], s18, v11
	v_cndmask_b32_e64 v11, 0, -1, s[0:1]
	v_cmp_eq_u32_e64 s[0:1], s19, v10
	v_cndmask_b32_e64 v10, v12, v11, s[0:1]
	v_add_co_u32_e64 v11, s[0:1], 2, v4
	v_addc_co_u32_e64 v12, s[0:1], 0, v9, s[0:1]
	v_add_co_u32_e64 v13, s[0:1], 1, v4
	v_addc_co_u32_e64 v14, s[0:1], 0, v9, s[0:1]
	v_subb_co_u32_e32 v8, vcc, v6, v8, vcc
	v_cmp_ne_u32_e64 s[0:1], 0, v10
	v_cmp_le_u32_e32 vcc, s19, v8
	v_cndmask_b32_e64 v10, v14, v12, s[0:1]
	v_cndmask_b32_e64 v12, 0, -1, vcc
	v_cmp_le_u32_e32 vcc, s18, v7
	v_cndmask_b32_e64 v7, 0, -1, vcc
	v_cmp_eq_u32_e32 vcc, s19, v8
	v_cndmask_b32_e32 v7, v12, v7, vcc
	v_cmp_ne_u32_e32 vcc, 0, v7
	v_cndmask_b32_e64 v7, v13, v11, s[0:1]
	v_cndmask_b32_e32 v8, v9, v10, vcc
	v_cndmask_b32_e32 v7, v4, v7, vcc
.LBB0_4:                                ;   in Loop: Header=BB0_2 Depth=1
	s_andn2_saveexec_b64 s[0:1], s[20:21]
	s_cbranch_execz .LBB0_6
; %bb.5:                                ;   in Loop: Header=BB0_2 Depth=1
	v_cvt_f32_u32_e32 v4, s18
	s_sub_i32 s20, 0, s18
	v_rcp_iflag_f32_e32 v4, v4
	v_mul_f32_e32 v4, 0x4f7ffffe, v4
	v_cvt_u32_f32_e32 v4, v4
	v_mul_lo_u32 v7, s20, v4
	v_mul_hi_u32 v7, v4, v7
	v_add_u32_e32 v4, v4, v7
	v_mul_hi_u32 v4, v5, v4
	v_mul_lo_u32 v7, v4, s18
	v_add_u32_e32 v8, 1, v4
	v_sub_u32_e32 v7, v5, v7
	v_subrev_u32_e32 v9, s18, v7
	v_cmp_le_u32_e32 vcc, s18, v7
	v_cndmask_b32_e32 v7, v7, v9, vcc
	v_cndmask_b32_e32 v4, v4, v8, vcc
	v_add_u32_e32 v8, 1, v4
	v_cmp_le_u32_e32 vcc, s18, v7
	v_cndmask_b32_e32 v7, v4, v8, vcc
	v_mov_b32_e32 v8, v3
.LBB0_6:                                ;   in Loop: Header=BB0_2 Depth=1
	s_or_b64 exec, exec, s[0:1]
	v_mul_lo_u32 v4, v8, s18
	v_mul_lo_u32 v11, v7, s19
	v_mad_u64_u32 v[9:10], s[0:1], v7, s18, 0
	s_load_dwordx2 s[0:1], s[6:7], 0x0
	s_add_u32 s16, s16, 1
	v_add3_u32 v4, v10, v11, v4
	v_sub_co_u32_e32 v5, vcc, v5, v9
	v_subb_co_u32_e32 v4, vcc, v6, v4, vcc
	s_waitcnt lgkmcnt(0)
	v_mul_lo_u32 v4, s0, v4
	v_mul_lo_u32 v6, s1, v5
	v_mad_u64_u32 v[1:2], s[0:1], s0, v5, v[1:2]
	s_addc_u32 s17, s17, 0
	s_add_u32 s6, s6, 8
	v_add3_u32 v2, v6, v2, v4
	v_mov_b32_e32 v4, s10
	v_mov_b32_e32 v5, s11
	s_addc_u32 s7, s7, 0
	v_cmp_ge_u64_e32 vcc, s[16:17], v[4:5]
	s_add_u32 s14, s14, 8
	s_addc_u32 s15, s15, 0
	s_cbranch_vccnz .LBB0_9
; %bb.7:                                ;   in Loop: Header=BB0_2 Depth=1
	v_mov_b32_e32 v5, v7
	v_mov_b32_e32 v6, v8
	s_branch .LBB0_2
.LBB0_8:
	v_mov_b32_e32 v8, v6
	v_mov_b32_e32 v7, v5
.LBB0_9:
	s_lshl_b64 s[0:1], s[10:11], 3
	s_add_u32 s0, s2, s0
	s_addc_u32 s1, s3, s1
	s_load_dwordx2 s[2:3], s[0:1], 0x0
	s_load_dwordx2 s[6:7], s[4:5], 0x20
	v_mov_b32_e32 v39, 0
                                        ; implicit-def: $vgpr12_vgpr13
                                        ; implicit-def: $vgpr22_vgpr23
                                        ; implicit-def: $vgpr18_vgpr19
                                        ; implicit-def: $vgpr30_vgpr31
                                        ; implicit-def: $vgpr34_vgpr35
                                        ; implicit-def: $vgpr26_vgpr27
	s_waitcnt lgkmcnt(0)
	v_mad_u64_u32 v[36:37], s[0:1], s2, v7, v[1:2]
	s_mov_b32 s0, 0x4924925
	v_mul_hi_u32 v1, v0, s0
	v_mul_lo_u32 v3, s2, v8
	v_mul_lo_u32 v4, s3, v7
	v_cmp_gt_u64_e64 s[0:1], s[6:7], v[7:8]
	v_mul_u32_u24_e32 v1, 56, v1
	v_sub_u32_e32 v38, v0, v1
	v_add3_u32 v37, v4, v37, v3
                                        ; implicit-def: $vgpr8_vgpr9
                                        ; implicit-def: $vgpr2_vgpr3
	s_and_saveexec_b64 s[2:3], s[0:1]
	s_cbranch_execz .LBB0_13
; %bb.10:
	v_cmp_gt_u32_e32 vcc, 42, v38
                                        ; implicit-def: $vgpr0_vgpr1
                                        ; implicit-def: $vgpr6_vgpr7
                                        ; implicit-def: $vgpr24_vgpr25
                                        ; implicit-def: $vgpr32_vgpr33
                                        ; implicit-def: $vgpr28_vgpr29
                                        ; implicit-def: $vgpr16_vgpr17
                                        ; implicit-def: $vgpr20_vgpr21
                                        ; implicit-def: $vgpr10_vgpr11
	s_and_saveexec_b64 s[4:5], vcc
	s_cbranch_execz .LBB0_12
; %bb.11:
	v_lshlrev_b64 v[0:1], 4, v[36:37]
	v_mov_b32_e32 v39, 0
	v_mov_b32_e32 v2, s13
	v_add_co_u32_e32 v3, vcc, s12, v0
	v_addc_co_u32_e32 v2, vcc, v2, v1, vcc
	v_lshlrev_b64 v[0:1], 4, v[38:39]
	v_add_co_u32_e32 v4, vcc, v3, v0
	v_addc_co_u32_e32 v5, vcc, v2, v1, vcc
	v_add_co_u32_e32 v14, vcc, 0x1000, v4
	global_load_dwordx4 v[0:3], v[4:5], off
	global_load_dwordx4 v[10:13], v[4:5], off offset:672
	global_load_dwordx4 v[6:9], v[4:5], off offset:1344
	;; [unrolled: 1-line block ×3, first 2 shown]
	v_addc_co_u32_e32 v15, vcc, 0, v5, vcc
	global_load_dwordx4 v[16:19], v[4:5], off offset:2688
	global_load_dwordx4 v[24:27], v[4:5], off offset:3360
	global_load_dwordx4 v[28:31], v[4:5], off offset:4032
	global_load_dwordx4 v[32:35], v[14:15], off offset:608
.LBB0_12:
	s_or_b64 exec, exec, s[4:5]
	v_mov_b32_e32 v39, v38
.LBB0_13:
	s_or_b64 exec, exec, s[2:3]
	s_waitcnt vmcnt(2)
	v_add_f64 v[4:5], v[10:11], -v[24:25]
	v_add_f64 v[14:15], v[0:1], -v[16:17]
	s_waitcnt vmcnt(1)
	v_add_f64 v[24:25], v[6:7], -v[28:29]
	s_waitcnt vmcnt(0)
	v_add_f64 v[16:17], v[20:21], -v[32:33]
	v_add_f64 v[28:29], v[8:9], -v[30:31]
	;; [unrolled: 1-line block ×4, first 2 shown]
	s_mov_b32 s4, 0x667f3bcd
	v_fma_f64 v[10:11], v[10:11], 2.0, -v[4:5]
	v_fma_f64 v[45:46], v[0:1], 2.0, -v[14:15]
	;; [unrolled: 1-line block ×4, first 2 shown]
	v_add_f64 v[47:48], v[14:15], -v[28:29]
	v_add_f64 v[32:33], v[4:5], -v[30:31]
	v_fma_f64 v[26:27], v[12:13], 2.0, -v[42:43]
	v_add_f64 v[34:35], v[16:17], v[42:43]
	s_mov_b32 s5, 0x3fe6a09e
	s_mov_b32 s3, 0xbfe6a09e
	v_add_f64 v[20:21], v[45:46], -v[0:1]
	v_add_f64 v[0:1], v[10:11], -v[6:7]
	v_fma_f64 v[6:7], v[22:23], 2.0, -v[30:31]
	v_fma_f64 v[22:23], v[14:15], 2.0, -v[47:48]
	;; [unrolled: 1-line block ×3, first 2 shown]
	s_mov_b32 s2, s4
	v_fma_f64 v[42:43], v[42:43], 2.0, -v[34:35]
	v_and_b32_e32 v44, 1, v44
	v_fma_f64 v[4:5], v[45:46], 2.0, -v[20:21]
	v_fma_f64 v[12:13], v[10:11], 2.0, -v[0:1]
	v_add_f64 v[30:31], v[26:27], -v[6:7]
	v_fma_f64 v[45:46], v[32:33], s[4:5], v[47:48]
	v_fma_f64 v[6:7], v[40:41], s[2:3], v[22:23]
	v_cmp_eq_u32_e32 vcc, 1, v44
	v_add_f64 v[14:15], v[4:5], -v[12:13]
	v_add_f64 v[10:11], v[20:21], -v[30:31]
	v_fma_f64 v[12:13], v[34:35], s[2:3], v[45:46]
	v_fma_f64 v[16:17], v[42:43], s[2:3], v[6:7]
	v_mov_b32_e32 v45, 0x150
	v_cndmask_b32_e32 v44, 0, v45, vcc
	v_cmp_gt_u32_e64 s[2:3], 42, v38
	v_lshlrev_b32_e32 v44, 3, v44
	v_fma_f64 v[4:5], v[4:5], 2.0, -v[14:15]
	v_fma_f64 v[20:21], v[20:21], 2.0, -v[10:11]
	v_lshlrev_b32_e32 v45, 6, v38
	v_fma_f64 v[6:7], v[22:23], 2.0, -v[16:17]
	v_fma_f64 v[22:23], v[47:48], 2.0, -v[12:13]
	s_and_saveexec_b64 s[6:7], s[2:3]
	s_cbranch_execz .LBB0_15
; %bb.14:
	v_add3_u32 v46, 0, v45, v44
	ds_write_b128 v46, v[4:7]
	ds_write_b128 v46, v[20:23] offset:16
	ds_write_b128 v46, v[14:17] offset:32
	;; [unrolled: 1-line block ×3, first 2 shown]
.LBB0_15:
	s_or_b64 exec, exec, s[6:7]
	v_mul_f64 v[12:13], v[40:41], s[4:5]
	v_mul_f64 v[40:41], v[42:43], s[4:5]
	v_mul_f64 v[32:33], v[32:33], s[4:5]
	v_mul_f64 v[34:35], v[34:35], s[4:5]
	v_cmp_gt_u32_e32 vcc, 48, v38
	v_lshlrev_b32_e32 v42, 3, v38
	s_waitcnt lgkmcnt(0)
	s_barrier
	s_and_saveexec_b64 s[4:5], vcc
	s_cbranch_execz .LBB0_17
; %bb.16:
	v_add3_u32 v5, 0, v42, v44
	ds_read2_b64 v[46:49], v5 offset0:48 offset1:96
	ds_read2_b64 v[14:17], v5 offset0:144 offset1:192
	v_add3_u32 v4, 0, v44, v42
	v_add_u32_e32 v5, 0x400, v5
	ds_read2_b64 v[50:53], v5 offset0:112 offset1:160
	ds_read_b64 v[4:5], v4
	s_waitcnt lgkmcnt(3)
	v_mov_b32_e32 v6, v46
	s_waitcnt lgkmcnt(2)
	v_mov_b32_e32 v23, v15
	v_mov_b32_e32 v22, v14
	;; [unrolled: 1-line block ×4, first 2 shown]
	s_waitcnt lgkmcnt(1)
	v_mov_b32_e32 v10, v52
	v_mov_b32_e32 v16, v50
	;; [unrolled: 1-line block ×7, first 2 shown]
.LBB0_17:
	s_or_b64 exec, exec, s[4:5]
	v_add_f64 v[18:19], v[2:3], -v[18:19]
	v_fma_f64 v[8:9], v[8:9], 2.0, -v[28:29]
	v_fma_f64 v[26:27], v[26:27], 2.0, -v[30:31]
	s_waitcnt lgkmcnt(0)
	s_barrier
	v_fma_f64 v[2:3], v[2:3], 2.0, -v[18:19]
	v_add_f64 v[46:47], v[24:25], v[18:19]
	v_add_f64 v[8:9], v[2:3], -v[8:9]
	v_fma_f64 v[18:19], v[18:19], 2.0, -v[46:47]
	v_add_f64 v[34:35], v[34:35], v[46:47]
	v_fma_f64 v[2:3], v[2:3], 2.0, -v[8:9]
	v_add_f64 v[30:31], v[18:19], -v[40:41]
	v_add_f64 v[24:25], v[0:1], v[8:9]
	v_add_f64 v[28:29], v[2:3], -v[26:27]
	v_add_f64 v[30:31], v[12:13], v[30:31]
	v_add_f64 v[26:27], v[32:33], v[34:35]
	v_fma_f64 v[32:33], v[8:9], 2.0, -v[24:25]
	v_fma_f64 v[0:1], v[2:3], 2.0, -v[28:29]
	;; [unrolled: 1-line block ×4, first 2 shown]
	s_and_saveexec_b64 s[4:5], s[2:3]
	s_cbranch_execz .LBB0_19
; %bb.18:
	v_add3_u32 v8, 0, v45, v44
	ds_write_b128 v8, v[0:3]
	ds_write_b128 v8, v[32:35] offset:16
	ds_write_b128 v8, v[28:31] offset:32
	;; [unrolled: 1-line block ×3, first 2 shown]
.LBB0_19:
	s_or_b64 exec, exec, s[4:5]
	s_waitcnt lgkmcnt(0)
	s_barrier
	s_and_saveexec_b64 s[2:3], vcc
	s_cbranch_execz .LBB0_21
; %bb.20:
	v_add3_u32 v2, 0, v42, v44
	v_add_u32_e32 v0, 0x400, v2
	ds_read2_b64 v[26:29], v0 offset0:112 offset1:160
	v_add3_u32 v0, 0, v44, v42
	ds_read2_b64 v[32:35], v2 offset0:144 offset1:192
	ds_read_b64 v[0:1], v0
	ds_read2_b64 v[45:48], v2 offset0:48 offset1:96
	s_waitcnt lgkmcnt(3)
	v_mov_b32_e32 v24, v28
	v_mov_b32_e32 v25, v29
	s_waitcnt lgkmcnt(2)
	v_mov_b32_e32 v28, v34
	v_mov_b32_e32 v29, v35
	;; [unrolled: 1-line block ×5, first 2 shown]
	s_waitcnt lgkmcnt(0)
	v_mov_b32_e32 v32, v47
	v_mov_b32_e32 v2, v45
	;; [unrolled: 1-line block ×5, first 2 shown]
.LBB0_21:
	s_or_b64 exec, exec, s[2:3]
	v_and_b32_e32 v43, 7, v38
	v_mul_u32_u24_e32 v8, 6, v43
	v_lshlrev_b32_e32 v40, 4, v8
	global_load_dwordx4 v[45:48], v40, s[8:9] offset:16
	global_load_dwordx4 v[49:52], v40, s[8:9] offset:32
	global_load_dwordx4 v[53:56], v40, s[8:9]
	global_load_dwordx4 v[57:60], v40, s[8:9] offset:48
	global_load_dwordx4 v[61:64], v40, s[8:9] offset:80
	s_waitcnt vmcnt(4)
	v_mul_f64 v[8:9], v[32:33], v[47:48]
	v_mul_f64 v[12:13], v[20:21], v[47:48]
	s_waitcnt vmcnt(3)
	v_mul_f64 v[26:27], v[34:35], v[51:52]
	v_fma_f64 v[18:19], v[20:21], v[45:46], -v[8:9]
	v_fma_f64 v[20:21], v[32:33], v[45:46], v[12:13]
	global_load_dwordx4 v[45:48], v40, s[8:9] offset:64
	v_mul_f64 v[8:9], v[22:23], v[51:52]
	v_fma_f64 v[22:23], v[22:23], v[49:50], -v[26:27]
	s_waitcnt vmcnt(2)
	v_mul_f64 v[12:13], v[14:15], v[59:60]
	s_waitcnt vmcnt(0)
	s_barrier
	v_fma_f64 v[26:27], v[34:35], v[49:50], v[8:9]
	v_mul_f64 v[8:9], v[28:29], v[59:60]
	v_fma_f64 v[28:29], v[28:29], v[57:58], v[12:13]
	v_mul_f64 v[12:13], v[6:7], v[55:56]
	v_mul_f64 v[49:50], v[10:11], v[63:64]
	v_fma_f64 v[14:15], v[14:15], v[57:58], -v[8:9]
	v_mul_f64 v[8:9], v[2:3], v[55:56]
	v_fma_f64 v[40:41], v[2:3], v[53:54], v[12:13]
	v_mul_f64 v[32:33], v[30:31], v[47:48]
	v_mul_f64 v[34:35], v[16:17], v[47:48]
	;; [unrolled: 1-line block ×3, first 2 shown]
	v_fma_f64 v[24:25], v[24:25], v[61:62], v[49:50]
	v_fma_f64 v[16:17], v[16:17], v[45:46], -v[32:33]
	v_fma_f64 v[32:33], v[30:31], v[45:46], v[34:35]
	v_fma_f64 v[30:31], v[6:7], v[53:54], -v[8:9]
	v_fma_f64 v[34:35], v[10:11], v[61:62], -v[47:48]
	v_lshrrev_b32_e32 v45, 3, v38
	s_and_saveexec_b64 s[2:3], vcc
	s_cbranch_execz .LBB0_23
; %bb.22:
	v_add_f64 v[2:3], v[18:19], v[16:17]
	v_add_f64 v[6:7], v[30:31], v[34:35]
	;; [unrolled: 1-line block ×3, first 2 shown]
	v_add_f64 v[10:11], v[28:29], -v[26:27]
	v_add_f64 v[12:13], v[20:21], -v[32:33]
	;; [unrolled: 1-line block ×3, first 2 shown]
	s_mov_b32 s4, 0xe976ee23
	s_mov_b32 s10, 0x37e14327
	;; [unrolled: 1-line block ×3, first 2 shown]
	v_add_f64 v[48:49], v[2:3], v[6:7]
	v_add_f64 v[50:51], v[6:7], -v[8:9]
	s_mov_b32 s11, 0x3fe948f6
	v_add_f64 v[54:55], v[10:11], -v[12:13]
	v_add_f64 v[52:53], v[10:11], v[12:13]
	v_add_f64 v[12:13], v[12:13], -v[46:47]
	s_mov_b32 s6, 0x429ad128
	s_mov_b32 s7, 0x3febfeb5
	v_add_f64 v[48:49], v[8:9], v[48:49]
	v_add_f64 v[8:9], v[8:9], -v[2:3]
	v_add_f64 v[2:3], v[2:3], -v[6:7]
	;; [unrolled: 1-line block ×3, first 2 shown]
	v_mul_f64 v[10:11], v[50:51], s[10:11]
	v_mul_f64 v[50:51], v[54:55], s[4:5]
	s_mov_b32 s4, 0x36b3c0b5
	s_mov_b32 s5, 0x3fac98ee
	v_add_f64 v[4:5], v[4:5], v[48:49]
	v_mul_f64 v[54:55], v[8:9], s[4:5]
	v_add_f64 v[46:47], v[52:53], v[46:47]
	v_mul_f64 v[52:53], v[12:13], s[6:7]
	v_fma_f64 v[8:9], v[8:9], s[4:5], v[10:11]
	s_mov_b32 s5, 0xbfe77f67
	s_mov_b32 s4, 0x5476071b
	v_fma_f64 v[10:11], v[2:3], s[4:5], -v[10:11]
	s_mov_b32 s5, 0x3fe77f67
	s_mov_b32 s10, 0xaaaaaaaa
	;; [unrolled: 1-line block ×3, first 2 shown]
	v_fma_f64 v[2:3], v[2:3], s[4:5], -v[54:55]
	s_mov_b32 s5, 0x3fd5d0dc
	s_mov_b32 s4, 0xb247c609
	v_fma_f64 v[48:49], v[48:49], s[10:11], v[4:5]
	v_fma_f64 v[12:13], v[12:13], s[6:7], -v[50:51]
	v_fma_f64 v[50:51], v[6:7], s[4:5], v[50:51]
	s_mov_b32 s5, 0xbfd5d0dc
	v_fma_f64 v[6:7], v[6:7], s[4:5], -v[52:53]
	s_mov_b32 s4, 0x37c3f68c
	s_mov_b32 s5, 0x3fdc38aa
	v_add_f64 v[8:9], v[8:9], v[48:49]
	v_add_f64 v[2:3], v[2:3], v[48:49]
	v_fma_f64 v[12:13], v[46:47], s[4:5], v[12:13]
	v_add_f64 v[10:11], v[10:11], v[48:49]
	v_fma_f64 v[48:49], v[46:47], s[4:5], v[50:51]
	v_fma_f64 v[6:7], v[46:47], s[4:5], v[6:7]
	v_add_f64 v[46:47], v[12:13], v[2:3]
	v_add_f64 v[2:3], v[2:3], -v[12:13]
	v_add_f64 v[12:13], v[48:49], v[8:9]
	v_add_f64 v[50:51], v[6:7], v[10:11]
	v_add_f64 v[6:7], v[10:11], -v[6:7]
	v_add_f64 v[8:9], v[8:9], -v[48:49]
	v_mul_u32_u24_e32 v10, 56, v45
	v_or_b32_e32 v10, v10, v43
	v_lshlrev_b32_e32 v10, 3, v10
	v_add3_u32 v10, 0, v10, v44
	ds_write2_b64 v10, v[4:5], v[12:13] offset1:8
	ds_write2_b64 v10, v[50:51], v[2:3] offset0:16 offset1:24
	ds_write2_b64 v10, v[46:47], v[6:7] offset0:32 offset1:40
	ds_write_b64 v10, v[8:9] offset:384
.LBB0_23:
	s_or_b64 exec, exec, s[2:3]
	v_add3_u32 v46, 0, v44, v42
	v_add3_u32 v42, 0, v42, v44
	s_waitcnt lgkmcnt(0)
	s_barrier
	ds_read2_b64 v[2:5], v42 offset0:56 offset1:112
	ds_read2_b64 v[6:9], v42 offset0:168 offset1:224
	ds_read_b64 v[10:11], v46
	ds_read_b64 v[12:13], v42 offset:2240
	s_waitcnt lgkmcnt(0)
	s_barrier
	s_and_saveexec_b64 s[2:3], vcc
	s_cbranch_execz .LBB0_25
; %bb.24:
	v_add_f64 v[24:25], v[40:41], v[24:25]
	v_add_f64 v[20:21], v[20:21], v[32:33]
	v_add_f64 v[16:17], v[18:19], -v[16:17]
	v_add_f64 v[18:19], v[26:27], v[28:29]
	v_add_f64 v[14:15], v[14:15], -v[22:23]
	v_add_f64 v[30:31], v[30:31], -v[34:35]
	s_mov_b32 s6, 0x36b3c0b5
	s_mov_b32 s4, 0x37e14327
	;; [unrolled: 1-line block ×3, first 2 shown]
	v_add_f64 v[22:23], v[20:21], v[24:25]
	s_mov_b32 s5, 0x3fe948f6
	v_add_f64 v[26:27], v[24:25], -v[18:19]
	v_add_f64 v[28:29], v[14:15], v[16:17]
	v_add_f64 v[32:33], v[14:15], -v[16:17]
	v_add_f64 v[16:17], v[16:17], -v[30:31]
	s_mov_b32 s10, 0xe976ee23
	s_mov_b32 s11, 0xbfe11646
	v_add_f64 v[22:23], v[18:19], v[22:23]
	v_add_f64 v[18:19], v[18:19], -v[20:21]
	v_add_f64 v[20:21], v[20:21], -v[24:25]
	s_mov_b32 s14, 0x429ad128
	v_mul_f64 v[26:27], v[26:27], s[4:5]
	s_mov_b32 s15, 0x3febfeb5
	v_add_f64 v[14:15], v[30:31], -v[14:15]
	v_add_f64 v[28:29], v[28:29], v[30:31]
	v_add_f64 v[0:1], v[0:1], v[22:23]
	v_mul_f64 v[24:25], v[18:19], s[6:7]
	v_mul_f64 v[30:31], v[32:33], s[10:11]
	;; [unrolled: 1-line block ×3, first 2 shown]
	s_mov_b32 s5, 0x3fe77f67
	s_mov_b32 s4, 0x5476071b
	;; [unrolled: 1-line block ×4, first 2 shown]
	v_fma_f64 v[18:19], v[18:19], s[6:7], v[26:27]
	v_fma_f64 v[24:25], v[20:21], s[4:5], -v[24:25]
	s_mov_b32 s5, 0xbfe77f67
	v_fma_f64 v[20:21], v[20:21], s[4:5], -v[26:27]
	s_mov_b32 s5, 0x3fd5d0dc
	s_mov_b32 s4, 0xb247c609
	v_fma_f64 v[22:23], v[22:23], s[16:17], v[0:1]
	v_fma_f64 v[26:27], v[14:15], s[4:5], v[30:31]
	s_mov_b32 s5, 0xbfd5d0dc
	v_fma_f64 v[14:15], v[14:15], s[4:5], -v[32:33]
	v_fma_f64 v[16:17], v[16:17], s[14:15], -v[30:31]
	s_mov_b32 s4, 0x37c3f68c
	s_mov_b32 s5, 0x3fdc38aa
	v_add_f64 v[18:19], v[18:19], v[22:23]
	v_add_f64 v[24:25], v[24:25], v[22:23]
	;; [unrolled: 1-line block ×3, first 2 shown]
	v_fma_f64 v[22:23], v[28:29], s[4:5], v[26:27]
	v_fma_f64 v[14:15], v[28:29], s[4:5], v[14:15]
	;; [unrolled: 1-line block ×3, first 2 shown]
	v_add_f64 v[26:27], v[18:19], -v[22:23]
	v_add_f64 v[28:29], v[20:21], -v[14:15]
	v_add_f64 v[30:31], v[16:17], v[24:25]
	v_add_f64 v[16:17], v[24:25], -v[16:17]
	v_add_f64 v[14:15], v[14:15], v[20:21]
	v_add_f64 v[18:19], v[22:23], v[18:19]
	v_mul_u32_u24_e32 v20, 56, v45
	v_or_b32_e32 v20, v20, v43
	v_lshlrev_b32_e32 v20, 3, v20
	v_add3_u32 v20, 0, v20, v44
	ds_write2_b64 v20, v[0:1], v[26:27] offset1:8
	ds_write2_b64 v20, v[28:29], v[30:31] offset0:16 offset1:24
	ds_write2_b64 v20, v[16:17], v[14:15] offset0:32 offset1:40
	ds_write_b64 v20, v[18:19] offset:384
.LBB0_25:
	s_or_b64 exec, exec, s[2:3]
	s_waitcnt lgkmcnt(0)
	s_barrier
	s_and_saveexec_b64 s[2:3], s[0:1]
	s_cbranch_execz .LBB0_27
; %bb.26:
	v_mul_u32_u24_e32 v0, 5, v38
	v_lshlrev_b32_e32 v0, 4, v0
	global_load_dwordx4 v[14:17], v0, s[8:9] offset:816
	global_load_dwordx4 v[18:21], v0, s[8:9] offset:800
	;; [unrolled: 1-line block ×5, first 2 shown]
	ds_read2_b64 v[47:50], v42 offset0:56 offset1:112
	ds_read2_b64 v[51:54], v42 offset0:168 offset1:224
	ds_read_b64 v[0:1], v46
	ds_read_b64 v[34:35], v42 offset:2240
	v_lshlrev_b64 v[36:37], 4, v[36:37]
	v_mov_b32_e32 v40, 0
	v_mov_b32_e32 v41, s13
	v_add_co_u32_e32 v42, vcc, s12, v36
	v_lshlrev_b64 v[38:39], 4, v[39:40]
	v_addc_co_u32_e32 v43, vcc, v41, v37, vcc
	v_add_co_u32_e32 v38, vcc, v42, v38
	v_addc_co_u32_e32 v39, vcc, v43, v39, vcc
	s_mov_b32 s0, 0xe8584caa
	s_mov_b32 s1, 0x3febb67a
	s_mov_b32 s3, 0xbfebb67a
	s_mov_b32 s2, s0
	s_waitcnt vmcnt(4) lgkmcnt(2)
	v_mul_f64 v[36:37], v[53:54], v[16:17]
	s_waitcnt vmcnt(3)
	v_mul_f64 v[40:41], v[51:52], v[20:21]
	v_mul_f64 v[20:21], v[6:7], v[20:21]
	s_waitcnt vmcnt(1) lgkmcnt(0)
	v_mul_f64 v[44:45], v[34:35], v[28:29]
	v_mul_f64 v[28:29], v[12:13], v[28:29]
	v_mul_f64 v[42:43], v[49:50], v[24:25]
	v_mul_f64 v[24:25], v[4:5], v[24:25]
	v_fma_f64 v[36:37], v[8:9], v[14:15], -v[36:37]
	v_fma_f64 v[6:7], v[6:7], v[18:19], -v[40:41]
	v_mul_f64 v[8:9], v[8:9], v[16:17]
	s_waitcnt vmcnt(0)
	v_mul_f64 v[16:17], v[47:48], v[32:33]
	v_fma_f64 v[18:19], v[18:19], v[51:52], v[20:21]
	v_mul_f64 v[20:21], v[2:3], v[32:33]
	v_fma_f64 v[28:29], v[26:27], v[34:35], v[28:29]
	v_fma_f64 v[12:13], v[12:13], v[26:27], -v[44:45]
	v_fma_f64 v[4:5], v[4:5], v[22:23], -v[42:43]
	v_fma_f64 v[22:23], v[22:23], v[49:50], v[24:25]
	v_fma_f64 v[8:9], v[14:15], v[53:54], v[8:9]
	v_fma_f64 v[2:3], v[2:3], v[30:31], -v[16:17]
	v_add_co_u32_e32 v24, vcc, 0x1000, v38
	v_fma_f64 v[14:15], v[30:31], v[47:48], v[20:21]
	v_add_f64 v[16:17], v[18:19], v[28:29]
	v_add_f64 v[20:21], v[6:7], v[12:13]
	v_add_f64 v[32:33], v[18:19], -v[28:29]
	v_add_f64 v[30:31], v[22:23], v[8:9]
	v_add_f64 v[34:35], v[6:7], -v[12:13]
	;; [unrolled: 2-line block ×3, first 2 shown]
	v_add_f64 v[18:19], v[14:15], v[18:19]
	v_fma_f64 v[14:15], v[16:17], -0.5, v[14:15]
	v_fma_f64 v[16:17], v[20:21], -0.5, v[2:3]
	v_add_f64 v[20:21], v[4:5], v[36:37]
	v_add_f64 v[22:23], v[22:23], -v[8:9]
	v_add_f64 v[4:5], v[10:11], v[4:5]
	v_add_f64 v[2:3], v[2:3], v[6:7]
	v_fma_f64 v[0:1], v[30:31], -0.5, v[0:1]
	v_add_f64 v[6:7], v[40:41], v[8:9]
	v_fma_f64 v[8:9], v[34:35], s[0:1], v[14:15]
	v_fma_f64 v[30:31], v[32:33], s[0:1], v[16:17]
	;; [unrolled: 1-line block ×4, first 2 shown]
	v_add_f64 v[18:19], v[18:19], v[28:29]
	v_fma_f64 v[10:11], v[20:21], -0.5, v[10:11]
	v_add_f64 v[4:5], v[4:5], v[36:37]
	v_add_f64 v[12:13], v[2:3], v[12:13]
	v_mul_f64 v[20:21], v[8:9], -0.5
	v_mul_f64 v[27:28], v[30:31], s[2:3]
	v_mul_f64 v[32:33], v[16:17], -0.5
	v_mul_f64 v[36:37], v[14:15], s[0:1]
	v_fma_f64 v[34:35], v[25:26], s[0:1], v[0:1]
	v_fma_f64 v[25:26], v[25:26], s[2:3], v[0:1]
	v_fma_f64 v[40:41], v[22:23], s[2:3], v[10:11]
	v_add_f64 v[2:3], v[6:7], -v[18:19]
	v_fma_f64 v[16:17], v[16:17], s[2:3], v[20:21]
	v_fma_f64 v[20:21], v[14:15], 0.5, v[27:28]
	v_fma_f64 v[27:28], v[8:9], s[0:1], v[32:33]
	v_fma_f64 v[32:33], v[22:23], s[0:1], v[10:11]
	v_fma_f64 v[29:30], v[30:31], 0.5, v[36:37]
	v_add_f64 v[0:1], v[4:5], -v[12:13]
	v_add_f64 v[6:7], v[6:7], v[18:19]
	v_add_f64 v[4:5], v[4:5], v[12:13]
	v_add_f64 v[10:11], v[34:35], -v[16:17]
	v_add_f64 v[14:15], v[25:26], -v[20:21]
	v_add_f64 v[22:23], v[25:26], v[20:21]
	v_add_f64 v[18:19], v[34:35], v[16:17]
	v_add_f64 v[20:21], v[32:33], v[29:30]
	v_add_f64 v[16:17], v[40:41], v[27:28]
	v_add_f64 v[12:13], v[32:33], -v[29:30]
	v_add_f64 v[8:9], v[40:41], -v[27:28]
	v_addc_co_u32_e32 v25, vcc, 0, v39, vcc
	global_store_dwordx4 v[38:39], v[4:7], off
	global_store_dwordx4 v[38:39], v[0:3], off offset:2688
	global_store_dwordx4 v[38:39], v[20:23], off offset:896
	;; [unrolled: 1-line block ×5, first 2 shown]
.LBB0_27:
	s_endpgm
	.section	.rodata,"a",@progbits
	.p2align	6, 0x0
	.amdhsa_kernel fft_rtc_fwd_len336_factors_8_7_6_wgs_112_tpt_56_halfLds_dp_ip_CI_unitstride_sbrr_dirReg
		.amdhsa_group_segment_fixed_size 0
		.amdhsa_private_segment_fixed_size 0
		.amdhsa_kernarg_size 88
		.amdhsa_user_sgpr_count 6
		.amdhsa_user_sgpr_private_segment_buffer 1
		.amdhsa_user_sgpr_dispatch_ptr 0
		.amdhsa_user_sgpr_queue_ptr 0
		.amdhsa_user_sgpr_kernarg_segment_ptr 1
		.amdhsa_user_sgpr_dispatch_id 0
		.amdhsa_user_sgpr_flat_scratch_init 0
		.amdhsa_user_sgpr_private_segment_size 0
		.amdhsa_uses_dynamic_stack 0
		.amdhsa_system_sgpr_private_segment_wavefront_offset 0
		.amdhsa_system_sgpr_workgroup_id_x 1
		.amdhsa_system_sgpr_workgroup_id_y 0
		.amdhsa_system_sgpr_workgroup_id_z 0
		.amdhsa_system_sgpr_workgroup_info 0
		.amdhsa_system_vgpr_workitem_id 0
		.amdhsa_next_free_vgpr 65
		.amdhsa_next_free_sgpr 22
		.amdhsa_reserve_vcc 1
		.amdhsa_reserve_flat_scratch 0
		.amdhsa_float_round_mode_32 0
		.amdhsa_float_round_mode_16_64 0
		.amdhsa_float_denorm_mode_32 3
		.amdhsa_float_denorm_mode_16_64 3
		.amdhsa_dx10_clamp 1
		.amdhsa_ieee_mode 1
		.amdhsa_fp16_overflow 0
		.amdhsa_exception_fp_ieee_invalid_op 0
		.amdhsa_exception_fp_denorm_src 0
		.amdhsa_exception_fp_ieee_div_zero 0
		.amdhsa_exception_fp_ieee_overflow 0
		.amdhsa_exception_fp_ieee_underflow 0
		.amdhsa_exception_fp_ieee_inexact 0
		.amdhsa_exception_int_div_zero 0
	.end_amdhsa_kernel
	.text
.Lfunc_end0:
	.size	fft_rtc_fwd_len336_factors_8_7_6_wgs_112_tpt_56_halfLds_dp_ip_CI_unitstride_sbrr_dirReg, .Lfunc_end0-fft_rtc_fwd_len336_factors_8_7_6_wgs_112_tpt_56_halfLds_dp_ip_CI_unitstride_sbrr_dirReg
                                        ; -- End function
	.section	.AMDGPU.csdata,"",@progbits
; Kernel info:
; codeLenInByte = 4364
; NumSgprs: 26
; NumVgprs: 65
; ScratchSize: 0
; MemoryBound: 1
; FloatMode: 240
; IeeeMode: 1
; LDSByteSize: 0 bytes/workgroup (compile time only)
; SGPRBlocks: 3
; VGPRBlocks: 16
; NumSGPRsForWavesPerEU: 26
; NumVGPRsForWavesPerEU: 65
; Occupancy: 3
; WaveLimiterHint : 1
; COMPUTE_PGM_RSRC2:SCRATCH_EN: 0
; COMPUTE_PGM_RSRC2:USER_SGPR: 6
; COMPUTE_PGM_RSRC2:TRAP_HANDLER: 0
; COMPUTE_PGM_RSRC2:TGID_X_EN: 1
; COMPUTE_PGM_RSRC2:TGID_Y_EN: 0
; COMPUTE_PGM_RSRC2:TGID_Z_EN: 0
; COMPUTE_PGM_RSRC2:TIDIG_COMP_CNT: 0
	.type	__hip_cuid_3f903586a0cc188d,@object ; @__hip_cuid_3f903586a0cc188d
	.section	.bss,"aw",@nobits
	.globl	__hip_cuid_3f903586a0cc188d
__hip_cuid_3f903586a0cc188d:
	.byte	0                               ; 0x0
	.size	__hip_cuid_3f903586a0cc188d, 1

	.ident	"AMD clang version 19.0.0git (https://github.com/RadeonOpenCompute/llvm-project roc-6.4.0 25133 c7fe45cf4b819c5991fe208aaa96edf142730f1d)"
	.section	".note.GNU-stack","",@progbits
	.addrsig
	.addrsig_sym __hip_cuid_3f903586a0cc188d
	.amdgpu_metadata
---
amdhsa.kernels:
  - .args:
      - .actual_access:  read_only
        .address_space:  global
        .offset:         0
        .size:           8
        .value_kind:     global_buffer
      - .offset:         8
        .size:           8
        .value_kind:     by_value
      - .actual_access:  read_only
        .address_space:  global
        .offset:         16
        .size:           8
        .value_kind:     global_buffer
      - .actual_access:  read_only
        .address_space:  global
        .offset:         24
        .size:           8
        .value_kind:     global_buffer
      - .offset:         32
        .size:           8
        .value_kind:     by_value
      - .actual_access:  read_only
        .address_space:  global
        .offset:         40
        .size:           8
        .value_kind:     global_buffer
      - .actual_access:  read_only
        .address_space:  global
        .offset:         48
        .size:           8
        .value_kind:     global_buffer
      - .offset:         56
        .size:           4
        .value_kind:     by_value
      - .actual_access:  read_only
        .address_space:  global
        .offset:         64
        .size:           8
        .value_kind:     global_buffer
      - .actual_access:  read_only
        .address_space:  global
        .offset:         72
        .size:           8
        .value_kind:     global_buffer
      - .address_space:  global
        .offset:         80
        .size:           8
        .value_kind:     global_buffer
    .group_segment_fixed_size: 0
    .kernarg_segment_align: 8
    .kernarg_segment_size: 88
    .language:       OpenCL C
    .language_version:
      - 2
      - 0
    .max_flat_workgroup_size: 112
    .name:           fft_rtc_fwd_len336_factors_8_7_6_wgs_112_tpt_56_halfLds_dp_ip_CI_unitstride_sbrr_dirReg
    .private_segment_fixed_size: 0
    .sgpr_count:     26
    .sgpr_spill_count: 0
    .symbol:         fft_rtc_fwd_len336_factors_8_7_6_wgs_112_tpt_56_halfLds_dp_ip_CI_unitstride_sbrr_dirReg.kd
    .uniform_work_group_size: 1
    .uses_dynamic_stack: false
    .vgpr_count:     65
    .vgpr_spill_count: 0
    .wavefront_size: 64
amdhsa.target:   amdgcn-amd-amdhsa--gfx906
amdhsa.version:
  - 1
  - 2
...

	.end_amdgpu_metadata
